;; amdgpu-corpus repo=zjin-lcf/HeCBench kind=compiled arch=gfx1201 opt=O3
	.amdgcn_target "amdgcn-amd-amdhsa--gfx1201"
	.amdhsa_code_object_version 6
	.text
	.protected	_Z6k_slowiiiPiS_jii     ; -- Begin function _Z6k_slowiiiPiS_jii
	.globl	_Z6k_slowiiiPiS_jii
	.p2align	8
	.type	_Z6k_slowiiiPiS_jii,@function
_Z6k_slowiiiPiS_jii:                    ; @_Z6k_slowiiiPiS_jii
; %bb.0:
	s_clause 0x1
	s_load_b32 s2, s[0:1], 0x3c
	s_load_b96 s[8:10], s[0:1], 0x20
	s_wait_kmcnt 0x0
	s_and_b32 s2, s2, 0xffff
	s_delay_alu instid0(SALU_CYCLE_1)
	v_mad_co_u64_u32 v[0:1], null, ttmp9, s2, v[0:1]
	s_mov_b32 s2, exec_lo
	v_cmpx_gt_i32_e64 s10, v0
	s_cbranch_execz .LBB0_28
; %bb.1:
	s_clause 0x1
	s_load_b128 s[4:7], s[0:1], 0x10
	s_load_b96 s[0:2], s[0:1], 0x0
	s_cmp_eq_u32 s8, 0
	s_mov_b32 s3, 0
	s_cbranch_scc1 .LBB0_4
; %bb.2:
	s_mov_b32 s10, 1
	s_wait_kmcnt 0x0
	s_lshl_b32 s11, s2, 1
	s_mov_b32 s12, s8
.LBB0_3:                                ; =>This Inner Loop Header: Depth=1
	s_delay_alu instid0(SALU_CYCLE_1)
	s_abs_i32 s13, s12
	s_wait_alu 0xfffe
	s_abs_i32 s16, s11
	s_cvt_f32_u32 s14, s13
	s_sub_co_i32 s15, 0, s13
	s_wait_alu 0xfffe
	s_delay_alu instid0(SALU_CYCLE_1) | instskip(NEXT) | instid1(TRANS32_DEP_1)
	v_rcp_iflag_f32_e32 v1, s14
	v_readfirstlane_b32 s14, v1
	s_mul_f32 s14, s14, 0x4f7ffffe
	s_wait_alu 0xfffe
	s_delay_alu instid0(SALU_CYCLE_2) | instskip(SKIP_1) | instid1(SALU_CYCLE_2)
	s_cvt_u32_f32 s14, s14
	s_wait_alu 0xfffe
	s_mul_i32 s15, s15, s14
	s_wait_alu 0xfffe
	s_mul_hi_u32 s15, s14, s15
	s_wait_alu 0xfffe
	s_add_co_i32 s14, s14, s15
	s_xor_b32 s15, s11, s12
	s_wait_alu 0xfffe
	s_mul_hi_u32 s14, s16, s14
	s_ashr_i32 s15, s15, 31
	s_wait_alu 0xfffe
	s_mul_i32 s17, s14, s13
	s_delay_alu instid0(SALU_CYCLE_1)
	s_sub_co_i32 s16, s16, s17
	s_add_co_i32 s17, s14, 1
	s_sub_co_i32 s18, s16, s13
	s_cmp_ge_u32 s16, s13
	s_cselect_b32 s14, s17, s14
	s_cselect_b32 s16, s18, s16
	s_wait_alu 0xfffe
	s_add_co_i32 s17, s14, 1
	s_cmp_ge_u32 s16, s13
	s_cselect_b32 s13, s17, s14
	s_delay_alu instid0(SALU_CYCLE_1)
	s_xor_b32 s14, s13, s15
	s_mov_b32 s13, s3
	s_wait_alu 0xfffe
	s_sub_co_i32 s3, s14, s15
	s_wait_alu 0xfffe
	s_mul_i32 s14, s3, s13
	s_mul_i32 s15, s3, s12
	s_wait_alu 0xfffe
	s_sub_co_i32 s3, s10, s14
	s_sub_co_i32 s14, s11, s15
	s_mov_b32 s10, s13
	s_wait_alu 0xfffe
	s_cmp_lg_u32 s14, 0
	s_mov_b32 s11, s12
	s_mov_b32 s12, s14
	s_cbranch_scc1 .LBB0_3
	s_branch .LBB0_5
.LBB0_4:
	s_mov_b32 s13, 1
.LBB0_5:
	s_delay_alu instid0(SALU_CYCLE_1)
	s_sub_co_i32 s11, s13, s8
.LBB0_6:                                ; =>This Inner Loop Header: Depth=1
	s_wait_alu 0xfffe
	s_add_co_i32 s11, s11, s8
	s_wait_alu 0xfffe
	s_cmp_lt_i32 s11, 0
	s_cbranch_scc1 .LBB0_6
; %bb.7:
	s_cvt_f32_u32 s3, s8
	s_wait_kmcnt 0x0
	s_mul_i32 s13, s1, s1
	s_delay_alu instid0(SALU_CYCLE_1) | instskip(SKIP_3) | instid1(TRANS32_DEP_1)
	s_mul_i32 s13, s13, 3
	s_wait_alu 0xfffe
	v_rcp_iflag_f32_e32 v1, s3
	s_add_co_i32 s9, s9, s13
	v_readfirstlane_b32 s3, v1
	s_mul_f32 s3, s3, 0x4f7ffffe
	s_wait_alu 0xfffe
	s_delay_alu instid0(SALU_CYCLE_2) | instskip(SKIP_2) | instid1(SALU_CYCLE_1)
	s_cvt_u32_f32 s10, s3
	s_sub_co_i32 s3, 0, s8
	s_wait_alu 0xfffe
	s_mul_i32 s12, s3, s10
	s_delay_alu instid0(SALU_CYCLE_1) | instskip(NEXT) | instid1(SALU_CYCLE_1)
	s_mul_hi_u32 s12, s10, s12
	s_add_co_i32 s10, s10, s12
	s_wait_alu 0xfffe
	s_mul_hi_u32 s12, s11, s10
	s_delay_alu instid0(SALU_CYCLE_1) | instskip(NEXT) | instid1(SALU_CYCLE_1)
	s_mul_i32 s12, s12, s8
	s_sub_co_i32 s11, s11, s12
	s_wait_alu 0xfffe
	s_sub_co_i32 s12, s11, s8
	s_cmp_ge_u32 s11, s8
	s_cselect_b32 s11, s12, s11
	s_wait_alu 0xfffe
	s_sub_co_i32 s12, s11, s8
	s_cmp_ge_u32 s11, s8
	s_cselect_b32 s14, s12, s11
	s_lshl_b32 s12, s1, 1
	s_wait_alu 0xfffe
	s_mul_i32 s14, s14, s9
	s_mov_b32 s11, 0
	s_wait_alu 0xfffe
	s_mul_i32 s9, s14, s14
	s_delay_alu instid0(SALU_CYCLE_1) | instskip(NEXT) | instid1(SALU_CYCLE_1)
	s_sub_co_i32 s9, s9, s8
	s_sub_co_i32 s12, s9, s12
.LBB0_8:                                ; =>This Inner Loop Header: Depth=1
	s_delay_alu instid0(SALU_CYCLE_1) | instskip(NEXT) | instid1(SALU_CYCLE_1)
	s_add_co_i32 s12, s12, s8
	s_cmp_lt_i32 s12, 0
	s_cbranch_scc1 .LBB0_8
; %bb.9:
	s_mov_b32 s13, 0
	v_ashrrev_i32_e32 v1, 31, v0
	s_mul_u64 s[16:17], s[12:13], s[10:11]
	s_delay_alu instid0(SALU_CYCLE_1) | instskip(NEXT) | instid1(VALU_DEP_1)
	s_mul_i32 s9, s17, s8
	v_lshlrev_b64_e32 v[2:3], 2, v[0:1]
	s_sub_co_i32 s9, s12, s9
	s_delay_alu instid0(SALU_CYCLE_1) | instskip(SKIP_2) | instid1(VALU_DEP_1)
	s_sub_co_i32 s12, s9, s8
	s_cmp_ge_u32 s9, s8
	s_cselect_b32 s9, s12, s9
	v_add_co_u32 v0, vcc_lo, s4, v2
	s_sub_co_i32 s12, s9, s8
	s_cmp_ge_u32 s9, s8
	v_add_co_ci_u32_e64 v1, null, s5, v3, vcc_lo
	s_cselect_b32 s9, s12, s9
	s_delay_alu instid0(SALU_CYCLE_1)
	s_sub_co_i32 s4, s1, s9
	v_mov_b32_e32 v4, s9
	s_wait_alu 0xfffe
	s_mul_i32 s4, s4, s14
	s_wait_alu 0xfffe
	s_sub_co_i32 s4, s4, s8
	s_wait_alu 0xfffe
	s_sub_co_i32 s4, s4, s2
	global_store_b32 v[0:1], v4, off
.LBB0_10:                               ; =>This Inner Loop Header: Depth=1
	s_wait_alu 0xfffe
	s_add_co_i32 s4, s4, s8
	s_wait_alu 0xfffe
	s_cmp_lt_i32 s4, 0
	s_cbranch_scc1 .LBB0_10
; %bb.11:
	s_mov_b32 s5, 0
	v_add_co_u32 v2, vcc_lo, s6, v2
	s_wait_alu 0xfffe
	s_mul_u64 s[12:13], s[4:5], s[10:11]
	s_wait_alu 0xfffd
	v_add_co_ci_u32_e64 v3, null, s7, v3, vcc_lo
	s_mul_i32 s12, s13, s8
	s_delay_alu instid0(SALU_CYCLE_1)
	s_sub_co_i32 s4, s4, s12
	s_wait_alu 0xfffe
	s_sub_co_i32 s12, s4, s8
	s_cmp_ge_u32 s4, s8
	s_cselect_b32 s4, s12, s4
	s_wait_alu 0xfffe
	s_sub_co_i32 s12, s4, s8
	s_cmp_ge_u32 s4, s8
	s_cselect_b32 s12, s12, s4
	s_cmp_lt_i32 s0, 3
	v_mov_b32_e32 v4, s12
	global_store_b32 v[2:3], v4, off
	s_cbranch_scc1 .LBB0_28
; %bb.12:
	s_add_co_i32 s6, s0, -2
	s_sub_co_i32 s0, s1, s8
.LBB0_13:                               ; =>This Loop Header: Depth=1
                                        ;     Child Loop BB0_14 Depth 2
                                        ;     Child Loop BB0_16 Depth 2
	;; [unrolled: 1-line block ×6, first 2 shown]
	s_wait_alu 0xfffe
	s_sub_co_i32 s4, s0, s9
.LBB0_14:                               ;   Parent Loop BB0_13 Depth=1
                                        ; =>  This Inner Loop Header: Depth=2
	s_wait_alu 0xfffe
	s_add_co_i32 s4, s4, s8
	s_wait_alu 0xfffe
	s_cmp_lt_i32 s4, 0
	s_cbranch_scc1 .LBB0_14
; %bb.15:                               ;   in Loop: Header=BB0_13 Depth=1
	s_mul_u64 s[14:15], s[4:5], s[10:11]
	s_wait_alu 0xfffe
	s_mul_i32 s7, s15, s8
	s_wait_alu 0xfffe
	s_sub_co_i32 s4, s4, s7
	s_wait_alu 0xfffe
	s_sub_co_i32 s7, s4, s8
	s_cmp_ge_u32 s4, s8
	s_wait_alu 0xfffe
	s_cselect_b32 s13, s7, s4
	s_mov_b32 s4, 0
	s_wait_alu 0xfffe
	s_sub_co_i32 s14, s13, s8
	s_cmp_ge_u32 s13, s8
	s_mov_b32 s7, 1
	s_wait_alu 0xfffe
	s_cselect_b32 s13, s14, s13
	s_mov_b32 s14, s8
.LBB0_16:                               ;   Parent Loop BB0_13 Depth=1
                                        ; =>  This Inner Loop Header: Depth=2
	s_wait_alu 0xfffe
	s_abs_i32 s15, s14
	s_abs_i32 s18, s13
	s_wait_alu 0xfffe
	s_cvt_f32_u32 s16, s15
	s_sub_co_i32 s17, 0, s15
	s_wait_alu 0xfffe
	s_delay_alu instid0(SALU_CYCLE_1) | instskip(NEXT) | instid1(TRANS32_DEP_1)
	v_rcp_iflag_f32_e32 v4, s16
	v_readfirstlane_b32 s16, v4
	s_mul_f32 s16, s16, 0x4f7ffffe
	s_wait_alu 0xfffe
	s_delay_alu instid0(SALU_CYCLE_2) | instskip(SKIP_1) | instid1(SALU_CYCLE_2)
	s_cvt_u32_f32 s16, s16
	s_wait_alu 0xfffe
	s_mul_i32 s17, s17, s16
	s_wait_alu 0xfffe
	s_mul_hi_u32 s17, s16, s17
	s_wait_alu 0xfffe
	s_add_co_i32 s16, s16, s17
	s_xor_b32 s17, s13, s14
	s_wait_alu 0xfffe
	s_mul_hi_u32 s16, s18, s16
	s_ashr_i32 s17, s17, 31
	s_wait_alu 0xfffe
	s_mul_i32 s19, s16, s15
	s_delay_alu instid0(SALU_CYCLE_1)
	s_sub_co_i32 s18, s18, s19
	s_add_co_i32 s19, s16, 1
	s_sub_co_i32 s20, s18, s15
	s_cmp_ge_u32 s18, s15
	s_cselect_b32 s16, s19, s16
	s_cselect_b32 s18, s20, s18
	s_wait_alu 0xfffe
	s_add_co_i32 s19, s16, 1
	s_cmp_ge_u32 s18, s15
	s_cselect_b32 s15, s19, s16
	s_wait_alu 0xfffe
	s_xor_b32 s16, s15, s17
	s_mov_b32 s15, s4
	s_wait_alu 0xfffe
	s_sub_co_i32 s4, s16, s17
	s_wait_alu 0xfffe
	s_mul_i32 s16, s4, s15
	s_mul_i32 s17, s4, s14
	s_wait_alu 0xfffe
	s_sub_co_i32 s4, s7, s16
	s_sub_co_i32 s16, s13, s17
	s_mov_b32 s7, s15
	s_wait_alu 0xfffe
	s_cmp_lg_u32 s16, 0
	s_mov_b32 s13, s14
	s_mov_b32 s14, s16
	s_cbranch_scc1 .LBB0_16
; %bb.17:                               ;   in Loop: Header=BB0_13 Depth=1
	s_add_co_i32 s4, s3, s15
.LBB0_18:                               ;   Parent Loop BB0_13 Depth=1
                                        ; =>  This Inner Loop Header: Depth=2
	s_wait_alu 0xfffe
	s_add_co_i32 s4, s4, s8
	s_wait_alu 0xfffe
	s_cmp_lt_i32 s4, 0
	s_cbranch_scc1 .LBB0_18
; %bb.19:                               ;   in Loop: Header=BB0_13 Depth=1
	s_mul_u64 s[14:15], s[4:5], s[10:11]
	s_wait_alu 0xfffe
	s_mul_i32 s7, s15, s8
	s_wait_alu 0xfffe
	s_sub_co_i32 s4, s4, s7
	s_sub_co_i32 s7, s2, s12
	s_wait_alu 0xfffe
	s_sub_co_i32 s13, s4, s8
	s_cmp_ge_u32 s4, s8
	s_wait_alu 0xfffe
	s_cselect_b32 s4, s13, s4
	s_wait_alu 0xfffe
	s_sub_co_i32 s13, s4, s8
	s_cmp_ge_u32 s4, s8
	s_wait_alu 0xfffe
	s_cselect_b32 s4, s13, s4
	s_wait_alu 0xfffe
	s_mul_i32 s4, s4, s7
	s_wait_alu 0xfffe
	s_add_co_i32 s4, s3, s4
.LBB0_20:                               ;   Parent Loop BB0_13 Depth=1
                                        ; =>  This Inner Loop Header: Depth=2
	s_wait_alu 0xfffe
	s_add_co_i32 s4, s4, s8
	s_wait_alu 0xfffe
	s_cmp_lt_i32 s4, 0
	s_cbranch_scc1 .LBB0_20
; %bb.21:                               ;   in Loop: Header=BB0_13 Depth=1
	s_mul_u64 s[14:15], s[4:5], s[10:11]
	s_wait_alu 0xfffe
	s_mul_i32 s7, s15, s8
	s_wait_alu 0xfffe
	s_sub_co_i32 s4, s4, s7
	s_wait_alu 0xfffe
	s_sub_co_i32 s7, s4, s8
	s_cmp_ge_u32 s4, s8
	s_wait_alu 0xfffe
	s_cselect_b32 s4, s7, s4
	s_wait_alu 0xfffe
	s_sub_co_i32 s7, s4, s8
	s_cmp_ge_u32 s4, s8
	s_wait_alu 0xfffe
	s_cselect_b32 s13, s7, s4
	s_add_co_i32 s7, s9, s1
	s_wait_alu 0xfffe
	s_mul_i32 s4, s13, s13
	s_wait_alu 0xfffe
	s_add_co_i32 s4, s3, s4
	s_wait_alu 0xfffe
	s_sub_co_i32 s4, s4, s7
.LBB0_22:                               ;   Parent Loop BB0_13 Depth=1
                                        ; =>  This Inner Loop Header: Depth=2
	s_wait_alu 0xfffe
	s_add_co_i32 s4, s4, s8
	s_wait_alu 0xfffe
	s_cmp_lt_i32 s4, 0
	s_cbranch_scc1 .LBB0_22
; %bb.23:                               ;   in Loop: Header=BB0_13 Depth=1
	s_mul_u64 s[14:15], s[4:5], s[10:11]
	s_wait_alu 0xfffe
	s_mul_i32 s7, s15, s8
	s_wait_alu 0xfffe
	s_sub_co_i32 s4, s4, s7
	s_wait_alu 0xfffe
	s_sub_co_i32 s7, s4, s8
	s_cmp_ge_u32 s4, s8
	s_wait_alu 0xfffe
	s_cselect_b32 s4, s7, s4
	s_wait_alu 0xfffe
	s_sub_co_i32 s7, s4, s8
	s_cmp_ge_u32 s4, s8
	s_wait_alu 0xfffe
	s_cselect_b32 s7, s7, s4
	s_wait_alu 0xfffe
	s_sub_co_i32 s4, s9, s7
	s_wait_alu 0xfffe
	s_mul_i32 s4, s4, s13
	s_wait_alu 0xfffe
	s_add_co_i32 s4, s3, s4
	s_wait_alu 0xfffe
	s_sub_co_i32 s4, s4, s12
.LBB0_24:                               ;   Parent Loop BB0_13 Depth=1
                                        ; =>  This Inner Loop Header: Depth=2
	s_wait_alu 0xfffe
	s_add_co_i32 s4, s4, s8
	s_wait_alu 0xfffe
	s_cmp_lt_i32 s4, 0
	s_cbranch_scc1 .LBB0_24
; %bb.25:                               ;   in Loop: Header=BB0_13 Depth=1
	s_mul_u64 s[12:13], s[4:5], s[10:11]
	s_wait_alu 0xfffe
	s_mul_i32 s9, s13, s8
	s_wait_alu 0xfffe
	s_sub_co_i32 s4, s4, s9
	s_wait_alu 0xfffe
	s_sub_co_i32 s9, s4, s8
	s_cmp_ge_u32 s4, s8
	s_wait_alu 0xfffe
	s_cselect_b32 s4, s9, s4
	s_wait_alu 0xfffe
	s_sub_co_i32 s9, s4, s8
	s_cmp_ge_u32 s4, s8
	s_wait_alu 0xfffe
	s_cselect_b32 s12, s9, s4
	s_add_co_i32 s4, s6, -1
	s_cmp_gt_u32 s6, 1
	s_cbranch_scc0 .LBB0_27
; %bb.26:                               ;   in Loop: Header=BB0_13 Depth=1
	s_mov_b32 s9, s7
	s_wait_alu 0xfffe
	s_mov_b32 s6, s4
	s_branch .LBB0_13
.LBB0_27:
	s_wait_alu 0xfffe
	v_dual_mov_b32 v4, s7 :: v_dual_mov_b32 v5, s12
	global_store_b32 v[0:1], v4, off
	global_store_b32 v[2:3], v5, off
.LBB0_28:
	s_endpgm
	.section	.rodata,"a",@progbits
	.p2align	6, 0x0
	.amdhsa_kernel _Z6k_slowiiiPiS_jii
		.amdhsa_group_segment_fixed_size 0
		.amdhsa_private_segment_fixed_size 0
		.amdhsa_kernarg_size 304
		.amdhsa_user_sgpr_count 2
		.amdhsa_user_sgpr_dispatch_ptr 0
		.amdhsa_user_sgpr_queue_ptr 0
		.amdhsa_user_sgpr_kernarg_segment_ptr 1
		.amdhsa_user_sgpr_dispatch_id 0
		.amdhsa_user_sgpr_private_segment_size 0
		.amdhsa_wavefront_size32 1
		.amdhsa_uses_dynamic_stack 0
		.amdhsa_enable_private_segment 0
		.amdhsa_system_sgpr_workgroup_id_x 1
		.amdhsa_system_sgpr_workgroup_id_y 0
		.amdhsa_system_sgpr_workgroup_id_z 0
		.amdhsa_system_sgpr_workgroup_info 0
		.amdhsa_system_vgpr_workitem_id 0
		.amdhsa_next_free_vgpr 6
		.amdhsa_next_free_sgpr 21
		.amdhsa_reserve_vcc 1
		.amdhsa_float_round_mode_32 0
		.amdhsa_float_round_mode_16_64 0
		.amdhsa_float_denorm_mode_32 3
		.amdhsa_float_denorm_mode_16_64 3
		.amdhsa_fp16_overflow 0
		.amdhsa_workgroup_processor_mode 1
		.amdhsa_memory_ordered 1
		.amdhsa_forward_progress 1
		.amdhsa_inst_pref_size 13
		.amdhsa_round_robin_scheduling 0
		.amdhsa_exception_fp_ieee_invalid_op 0
		.amdhsa_exception_fp_denorm_src 0
		.amdhsa_exception_fp_ieee_div_zero 0
		.amdhsa_exception_fp_ieee_overflow 0
		.amdhsa_exception_fp_ieee_underflow 0
		.amdhsa_exception_fp_ieee_inexact 0
		.amdhsa_exception_int_div_zero 0
	.end_amdhsa_kernel
	.text
.Lfunc_end0:
	.size	_Z6k_slowiiiPiS_jii, .Lfunc_end0-_Z6k_slowiiiPiS_jii
                                        ; -- End function
	.set _Z6k_slowiiiPiS_jii.num_vgpr, 6
	.set _Z6k_slowiiiPiS_jii.num_agpr, 0
	.set _Z6k_slowiiiPiS_jii.numbered_sgpr, 21
	.set _Z6k_slowiiiPiS_jii.num_named_barrier, 0
	.set _Z6k_slowiiiPiS_jii.private_seg_size, 0
	.set _Z6k_slowiiiPiS_jii.uses_vcc, 1
	.set _Z6k_slowiiiPiS_jii.uses_flat_scratch, 0
	.set _Z6k_slowiiiPiS_jii.has_dyn_sized_stack, 0
	.set _Z6k_slowiiiPiS_jii.has_recursion, 0
	.set _Z6k_slowiiiPiS_jii.has_indirect_call, 0
	.section	.AMDGPU.csdata,"",@progbits
; Kernel info:
; codeLenInByte = 1588
; TotalNumSgprs: 23
; NumVgprs: 6
; ScratchSize: 0
; MemoryBound: 0
; FloatMode: 240
; IeeeMode: 1
; LDSByteSize: 0 bytes/workgroup (compile time only)
; SGPRBlocks: 0
; VGPRBlocks: 0
; NumSGPRsForWavesPerEU: 23
; NumVGPRsForWavesPerEU: 6
; Occupancy: 16
; WaveLimiterHint : 0
; COMPUTE_PGM_RSRC2:SCRATCH_EN: 0
; COMPUTE_PGM_RSRC2:USER_SGPR: 2
; COMPUTE_PGM_RSRC2:TRAP_HANDLER: 0
; COMPUTE_PGM_RSRC2:TGID_X_EN: 1
; COMPUTE_PGM_RSRC2:TGID_Y_EN: 0
; COMPUTE_PGM_RSRC2:TGID_Z_EN: 0
; COMPUTE_PGM_RSRC2:TIDIG_COMP_CNT: 0
	.text
	.protected	_Z6k_fastiiiPiS_jii     ; -- Begin function _Z6k_fastiiiPiS_jii
	.globl	_Z6k_fastiiiPiS_jii
	.p2align	8
	.type	_Z6k_fastiiiPiS_jii,@function
_Z6k_fastiiiPiS_jii:                    ; @_Z6k_fastiiiPiS_jii
; %bb.0:
	s_clause 0x1
	s_load_b32 s2, s[0:1], 0x3c
	s_load_b96 s[4:6], s[0:1], 0x20
	s_wait_kmcnt 0x0
	s_and_b32 s2, s2, 0xffff
	s_delay_alu instid0(SALU_CYCLE_1)
	v_mad_co_u64_u32 v[0:1], null, ttmp9, s2, v[0:1]
	s_mov_b32 s2, exec_lo
	v_cmpx_gt_i32_e64 s6, v0
	s_cbranch_execz .LBB1_58
; %bb.1:
	s_clause 0x1
	s_load_b128 s[8:11], s[0:1], 0x10
	s_load_b96 s[0:2], s[0:1], 0x0
	v_ashrrev_i32_e32 v1, 31, v0
	s_delay_alu instid0(VALU_DEP_1) | instskip(SKIP_1) | instid1(VALU_DEP_1)
	v_lshlrev_b64_e32 v[2:3], 2, v[0:1]
	s_wait_kmcnt 0x0
	v_add_co_u32 v0, vcc_lo, s8, v2
	s_delay_alu instid0(VALU_DEP_1)
	v_add_co_ci_u32_e64 v1, null, s9, v3, vcc_lo
	v_add_co_u32 v2, vcc_lo, s10, v2
	s_wait_alu 0xfffd
	v_add_co_ci_u32_e64 v3, null, s11, v3, vcc_lo
	v_dual_mov_b32 v4, s1 :: v_dual_mov_b32 v5, s2
	s_cmp_lt_i32 s0, 0
	global_store_b32 v[0:1], v4, off
	global_store_b32 v[2:3], v5, off
	s_cbranch_scc1 .LBB1_30
; %bb.2:
	s_cmp_gt_u32 s0, 0x3fffffff
	s_mov_b32 s3, 30
	s_cbranch_scc1 .LBB1_31
; %bb.3:
	s_cmp_gt_u32 s0, 0x1fffffff
	s_mov_b32 s3, 29
	s_cbranch_scc1 .LBB1_31
; %bb.4:
	s_cmp_gt_u32 s0, 0xfffffff
	s_mov_b32 s3, 28
	s_cbranch_scc1 .LBB1_31
; %bb.5:
	s_cmp_gt_u32 s0, 0x7ffffff
	s_mov_b32 s3, 27
	s_cbranch_scc1 .LBB1_31
; %bb.6:
	s_cmp_gt_u32 s0, 0x3ffffff
	s_mov_b32 s3, 26
	s_cbranch_scc1 .LBB1_31
; %bb.7:
	s_cmp_gt_u32 s0, 0x1ffffff
	s_mov_b32 s3, 25
	s_cbranch_scc1 .LBB1_31
; %bb.8:
	s_cmp_gt_u32 s0, 0xffffff
	s_mov_b32 s3, 24
	s_cbranch_scc1 .LBB1_31
; %bb.9:
	s_cmp_gt_u32 s0, 0x7fffff
	s_mov_b32 s3, 23
	s_cbranch_scc1 .LBB1_31
; %bb.10:
	s_cmp_gt_u32 s0, 0x3fffff
	s_mov_b32 s3, 22
	s_cbranch_scc1 .LBB1_31
; %bb.11:
	s_cmp_gt_u32 s0, 0x1fffff
	s_mov_b32 s3, 21
	s_cbranch_scc1 .LBB1_31
; %bb.12:
	s_cmp_gt_u32 s0, 0xfffff
	s_mov_b32 s3, 20
	s_cbranch_scc1 .LBB1_31
; %bb.13:
	s_cmp_gt_u32 s0, 0x7ffff
	s_mov_b32 s3, 19
	s_cbranch_scc1 .LBB1_31
; %bb.14:
	s_cmp_gt_u32 s0, 0x3ffff
	s_mov_b32 s3, 18
	s_cbranch_scc1 .LBB1_31
; %bb.15:
	s_cmp_gt_u32 s0, 0x1ffff
	s_mov_b32 s3, 17
	s_cbranch_scc1 .LBB1_31
; %bb.16:
	s_cmp_gt_u32 s0, 0xffff
	s_mov_b32 s3, 16
	s_cbranch_scc1 .LBB1_31
; %bb.17:
	s_cmp_gt_u32 s0, 0x7fff
	s_mov_b32 s3, 15
	s_cbranch_scc1 .LBB1_31
; %bb.18:
	s_cmp_gt_u32 s0, 0x3fff
	s_mov_b32 s3, 14
	s_cbranch_scc1 .LBB1_31
; %bb.19:
	s_cmp_gt_u32 s0, 0x1fff
	s_mov_b32 s3, 13
	s_cbranch_scc1 .LBB1_31
; %bb.20:
	s_cmp_gt_u32 s0, 0xfff
	s_mov_b32 s3, 12
	s_cbranch_scc1 .LBB1_31
; %bb.21:
	s_cmp_gt_u32 s0, 0x7ff
	s_mov_b32 s3, 11
	s_cbranch_scc1 .LBB1_31
; %bb.22:
	s_cmp_gt_u32 s0, 0x3ff
	s_mov_b32 s3, 10
	s_cbranch_scc1 .LBB1_31
; %bb.23:
	s_cmp_gt_u32 s0, 0x1ff
	s_mov_b32 s3, 9
	s_cbranch_scc1 .LBB1_31
; %bb.24:
	s_cmp_gt_u32 s0, 0xff
	s_mov_b32 s3, 8
	s_cbranch_scc1 .LBB1_31
; %bb.25:
	s_cmp_gt_u32 s0, 0x7f
	s_mov_b32 s3, 7
	s_cbranch_scc1 .LBB1_31
; %bb.26:
	s_cmp_gt_u32 s0, 63
	s_mov_b32 s3, 6
	s_cbranch_scc1 .LBB1_31
; %bb.27:
	s_cmp_gt_u32 s0, 31
	s_mov_b32 s3, 5
	s_cbranch_scc1 .LBB1_31
; %bb.28:
	s_cmp_gt_u32 s0, 15
	s_mov_b32 s3, 4
	s_cbranch_scc1 .LBB1_31
; %bb.29:
	s_cmp_gt_u32 s0, 1
	s_cselect_b32 s3, -1, 0
	s_cmp_lt_u32 s0, 4
	s_wait_alu 0xfffe
	v_cndmask_b32_e64 v4, 0, 1, s3
	s_delay_alu instid0(VALU_DEP_1)
	v_readfirstlane_b32 s3, v4
	s_cselect_b32 s3, s3, 2
	s_cmp_lt_u32 s0, 8
	s_wait_alu 0xfffe
	s_cselect_b32 s3, s3, 3
	s_branch .LBB1_31
.LBB1_30:
	s_mov_b32 s3, 31
.LBB1_31:
	s_wait_alu 0xfffe
	s_cmp_eq_u32 s3, 0
	s_cbranch_scc1 .LBB1_58
; %bb.32:
	s_cvt_f32_u32 s6, s4
	s_cmp_lg_u32 s4, 0
	s_mov_b32 s7, 0
	s_cselect_b32 s10, -1, 0
	s_wait_alu 0xfffe
	v_rcp_iflag_f32_e32 v4, s6
	s_sub_co_i32 s11, 0, s4
	s_mov_b32 s16, s1
	s_mov_b32 s9, s7
	s_sub_co_i32 s12, s1, s4
	s_mov_b32 s13, s2
	s_delay_alu instid0(TRANS32_DEP_1) | instskip(SKIP_2) | instid1(SALU_CYCLE_2)
	v_readfirstlane_b32 s6, v4
	s_mul_f32 s6, s6, 0x4f7ffffe
	s_wait_alu 0xfffe
	s_cvt_u32_f32 s6, s6
	s_wait_alu 0xfffe
	s_delay_alu instid0(SALU_CYCLE_2)
	s_mul_i32 s8, s11, s6
	s_wait_alu 0xfffe
	s_mul_hi_u32 s8, s6, s8
	s_wait_alu 0xfffe
	s_add_co_i32 s8, s6, s8
	s_and_not1_b32 vcc_lo, exec_lo, s10
	s_mov_b32 s18, 1
	s_wait_alu 0xfffe
	s_cbranch_vccnz .LBB1_35
.LBB1_33:
	s_mov_b32 s6, 1
	s_lshl_b32 s14, s13, 1
	s_mov_b32 s15, 0
	s_mov_b32 s17, s4
.LBB1_34:                               ; =>This Inner Loop Header: Depth=1
	s_delay_alu instid0(SALU_CYCLE_1)
	s_abs_i32 s18, s17
	s_abs_i32 s21, s14
	s_wait_alu 0xfffe
	s_cvt_f32_u32 s19, s18
	s_sub_co_i32 s20, 0, s18
	s_wait_alu 0xfffe
	s_delay_alu instid0(SALU_CYCLE_1) | instskip(NEXT) | instid1(TRANS32_DEP_1)
	v_rcp_iflag_f32_e32 v4, s19
	v_readfirstlane_b32 s19, v4
	s_mul_f32 s19, s19, 0x4f7ffffe
	s_wait_alu 0xfffe
	s_delay_alu instid0(SALU_CYCLE_2) | instskip(SKIP_1) | instid1(SALU_CYCLE_2)
	s_cvt_u32_f32 s19, s19
	s_wait_alu 0xfffe
	s_mul_i32 s20, s20, s19
	s_wait_alu 0xfffe
	s_mul_hi_u32 s20, s19, s20
	s_wait_alu 0xfffe
	s_add_co_i32 s19, s19, s20
	s_xor_b32 s20, s14, s17
	s_wait_alu 0xfffe
	s_mul_hi_u32 s19, s21, s19
	s_ashr_i32 s20, s20, 31
	s_wait_alu 0xfffe
	s_mul_i32 s22, s19, s18
	s_delay_alu instid0(SALU_CYCLE_1)
	s_sub_co_i32 s21, s21, s22
	s_add_co_i32 s22, s19, 1
	s_wait_alu 0xfffe
	s_sub_co_i32 s23, s21, s18
	s_cmp_ge_u32 s21, s18
	s_cselect_b32 s19, s22, s19
	s_cselect_b32 s21, s23, s21
	s_wait_alu 0xfffe
	s_add_co_i32 s22, s19, 1
	s_cmp_ge_u32 s21, s18
	s_cselect_b32 s18, s22, s19
	s_wait_alu 0xfffe
	s_xor_b32 s19, s18, s20
	s_mov_b32 s18, s15
	s_wait_alu 0xfffe
	s_sub_co_i32 s15, s19, s20
	s_delay_alu instid0(SALU_CYCLE_1)
	s_mul_i32 s19, s15, s18
	s_mul_i32 s20, s15, s17
	s_wait_alu 0xfffe
	s_sub_co_i32 s15, s6, s19
	s_sub_co_i32 s19, s14, s20
	s_mov_b32 s6, s18
	s_wait_alu 0xfffe
	s_cmp_lg_u32 s19, 0
	s_mov_b32 s14, s17
	s_mov_b32 s17, s19
	s_cbranch_scc1 .LBB1_34
.LBB1_35:                               ; =>This Loop Header: Depth=1
                                        ;     Child Loop BB1_36 Depth 2
                                        ;     Child Loop BB1_38 Depth 2
	;; [unrolled: 1-line block ×9, first 2 shown]
	s_add_co_i32 s6, s11, s18
.LBB1_36:                               ;   Parent Loop BB1_35 Depth=1
                                        ; =>  This Inner Loop Header: Depth=2
	s_wait_alu 0xfffe
	s_add_co_i32 s6, s6, s4
	s_wait_alu 0xfffe
	s_cmp_lt_i32 s6, 0
	s_cbranch_scc1 .LBB1_36
; %bb.37:                               ;   in Loop: Header=BB1_35 Depth=1
	s_mul_u64 s[14:15], s[6:7], s[8:9]
	s_mul_i32 s14, s16, s16
	s_mul_i32 s15, s15, s4
	;; [unrolled: 1-line block ×3, first 2 shown]
	s_sub_co_i32 s6, s6, s15
	s_add_co_i32 s14, s14, s5
	s_wait_alu 0xfffe
	s_sub_co_i32 s15, s6, s4
	s_cmp_ge_u32 s6, s4
	s_cselect_b32 s6, s15, s6
	s_wait_alu 0xfffe
	s_sub_co_i32 s15, s6, s4
	s_cmp_ge_u32 s6, s4
	s_cselect_b32 s6, s15, s6
	s_lshl_b32 s15, s16, 1
	s_wait_alu 0xfffe
	s_mul_i32 s14, s6, s14
	s_delay_alu instid0(SALU_CYCLE_1)
	s_mul_i32 s6, s14, s14
	s_wait_alu 0xfffe
	s_add_co_i32 s6, s11, s6
	s_wait_alu 0xfffe
	s_sub_co_i32 s6, s6, s15
.LBB1_38:                               ;   Parent Loop BB1_35 Depth=1
                                        ; =>  This Inner Loop Header: Depth=2
	s_wait_alu 0xfffe
	s_add_co_i32 s6, s6, s4
	s_wait_alu 0xfffe
	s_cmp_lt_i32 s6, 0
	s_cbranch_scc1 .LBB1_38
; %bb.39:                               ;   in Loop: Header=BB1_35 Depth=1
	s_mul_u64 s[18:19], s[6:7], s[8:9]
	s_wait_alu 0xfffe
	s_mul_i32 s15, s19, s4
	s_delay_alu instid0(SALU_CYCLE_1)
	s_sub_co_i32 s6, s6, s15
	s_wait_alu 0xfffe
	s_sub_co_i32 s15, s6, s4
	s_cmp_ge_u32 s6, s4
	s_cselect_b32 s6, s15, s6
	s_wait_alu 0xfffe
	s_sub_co_i32 s15, s6, s4
	s_cmp_ge_u32 s6, s4
	s_cselect_b32 s15, s15, s6
	s_delay_alu instid0(SALU_CYCLE_1)
	s_sub_co_i32 s6, s16, s15
	s_wait_alu 0xfffe
	s_mul_i32 s6, s6, s14
	s_wait_alu 0xfffe
	s_add_co_i32 s6, s11, s6
	s_wait_alu 0xfffe
	s_sub_co_i32 s6, s6, s13
.LBB1_40:                               ;   Parent Loop BB1_35 Depth=1
                                        ; =>  This Inner Loop Header: Depth=2
	s_wait_alu 0xfffe
	s_add_co_i32 s6, s6, s4
	s_wait_alu 0xfffe
	s_cmp_lt_i32 s6, 0
	s_cbranch_scc1 .LBB1_40
; %bb.41:                               ;   in Loop: Header=BB1_35 Depth=1
	s_mul_u64 s[16:17], s[6:7], s[8:9]
	s_add_co_i32 s14, s3, -1
	s_mul_i32 s13, s17, s4
	s_delay_alu instid0(SALU_CYCLE_1)
	s_sub_co_i32 s6, s6, s13
	s_wait_alu 0xfffe
	s_sub_co_i32 s13, s6, s4
	s_cmp_ge_u32 s6, s4
	s_cselect_b32 s6, s13, s6
	s_wait_alu 0xfffe
	s_sub_co_i32 s13, s6, s4
	s_cmp_ge_u32 s6, s4
	s_cselect_b32 s13, s13, s6
	s_lshr_b32 s6, s0, s14
	s_wait_alu 0xfffe
	s_bitcmp0_b32 s6, 0
	s_cbranch_scc1 .LBB1_55
; %bb.42:                               ;   in Loop: Header=BB1_35 Depth=1
	s_sub_co_i32 s6, s12, s15
.LBB1_43:                               ;   Parent Loop BB1_35 Depth=1
                                        ; =>  This Inner Loop Header: Depth=2
	s_wait_alu 0xfffe
	s_add_co_i32 s6, s6, s4
	s_wait_alu 0xfffe
	s_cmp_lt_i32 s6, 0
	s_cbranch_scc1 .LBB1_43
; %bb.44:                               ;   in Loop: Header=BB1_35 Depth=1
	s_mul_u64 s[16:17], s[6:7], s[8:9]
	s_delay_alu instid0(SALU_CYCLE_1) | instskip(NEXT) | instid1(SALU_CYCLE_1)
	s_mul_i32 s16, s17, s4
	s_sub_co_i32 s6, s6, s16
	s_wait_alu 0xfffe
	s_sub_co_i32 s16, s6, s4
	s_cmp_ge_u32 s6, s4
	s_cselect_b32 s17, s16, s6
	s_mov_b32 s6, 0
	s_sub_co_i32 s18, s17, s4
	s_cmp_ge_u32 s17, s4
	s_mov_b32 s16, 1
	s_wait_alu 0xfffe
	s_cselect_b32 s17, s18, s17
	s_mov_b32 s18, s4
.LBB1_45:                               ;   Parent Loop BB1_35 Depth=1
                                        ; =>  This Inner Loop Header: Depth=2
	s_wait_alu 0xfffe
	s_abs_i32 s19, s18
	s_abs_i32 s22, s17
	s_wait_alu 0xfffe
	s_cvt_f32_u32 s20, s19
	s_sub_co_i32 s21, 0, s19
	s_wait_alu 0xfffe
	s_delay_alu instid0(SALU_CYCLE_1) | instskip(NEXT) | instid1(TRANS32_DEP_1)
	v_rcp_iflag_f32_e32 v4, s20
	v_readfirstlane_b32 s20, v4
	s_mul_f32 s20, s20, 0x4f7ffffe
	s_wait_alu 0xfffe
	s_delay_alu instid0(SALU_CYCLE_2) | instskip(SKIP_1) | instid1(SALU_CYCLE_2)
	s_cvt_u32_f32 s20, s20
	s_wait_alu 0xfffe
	s_mul_i32 s21, s21, s20
	s_wait_alu 0xfffe
	s_mul_hi_u32 s21, s20, s21
	s_wait_alu 0xfffe
	s_add_co_i32 s20, s20, s21
	s_xor_b32 s21, s17, s18
	s_wait_alu 0xfffe
	s_mul_hi_u32 s20, s22, s20
	s_ashr_i32 s21, s21, 31
	s_wait_alu 0xfffe
	s_mul_i32 s23, s20, s19
	s_delay_alu instid0(SALU_CYCLE_1)
	s_sub_co_i32 s22, s22, s23
	s_add_co_i32 s23, s20, 1
	s_sub_co_i32 s24, s22, s19
	s_cmp_ge_u32 s22, s19
	s_cselect_b32 s20, s23, s20
	s_cselect_b32 s22, s24, s22
	s_wait_alu 0xfffe
	s_add_co_i32 s23, s20, 1
	s_cmp_ge_u32 s22, s19
	s_cselect_b32 s19, s23, s20
	s_wait_alu 0xfffe
	s_xor_b32 s20, s19, s21
	s_mov_b32 s19, s6
	s_wait_alu 0xfffe
	s_sub_co_i32 s6, s20, s21
	s_wait_alu 0xfffe
	s_mul_i32 s20, s6, s19
	s_mul_i32 s21, s6, s18
	s_wait_alu 0xfffe
	s_sub_co_i32 s6, s16, s20
	s_sub_co_i32 s20, s17, s21
	s_mov_b32 s16, s19
	s_wait_alu 0xfffe
	s_cmp_lg_u32 s20, 0
	s_mov_b32 s17, s18
	s_mov_b32 s18, s20
	s_cbranch_scc1 .LBB1_45
; %bb.46:                               ;   in Loop: Header=BB1_35 Depth=1
	s_add_co_i32 s6, s11, s19
.LBB1_47:                               ;   Parent Loop BB1_35 Depth=1
                                        ; =>  This Inner Loop Header: Depth=2
	s_wait_alu 0xfffe
	s_add_co_i32 s6, s6, s4
	s_wait_alu 0xfffe
	s_cmp_lt_i32 s6, 0
	s_cbranch_scc1 .LBB1_47
; %bb.48:                               ;   in Loop: Header=BB1_35 Depth=1
	s_mul_u64 s[16:17], s[6:7], s[8:9]
	s_delay_alu instid0(SALU_CYCLE_1) | instskip(NEXT) | instid1(SALU_CYCLE_1)
	s_mul_i32 s16, s17, s4
	s_sub_co_i32 s6, s6, s16
	s_sub_co_i32 s16, s2, s13
	s_wait_alu 0xfffe
	s_sub_co_i32 s17, s6, s4
	s_cmp_ge_u32 s6, s4
	s_cselect_b32 s6, s17, s6
	s_wait_alu 0xfffe
	s_sub_co_i32 s17, s6, s4
	s_cmp_ge_u32 s6, s4
	s_cselect_b32 s6, s17, s6
	s_wait_alu 0xfffe
	s_mul_i32 s6, s6, s16
	s_wait_alu 0xfffe
	s_add_co_i32 s6, s11, s6
.LBB1_49:                               ;   Parent Loop BB1_35 Depth=1
                                        ; =>  This Inner Loop Header: Depth=2
	s_wait_alu 0xfffe
	s_add_co_i32 s6, s6, s4
	s_wait_alu 0xfffe
	s_cmp_lt_i32 s6, 0
	s_cbranch_scc1 .LBB1_49
; %bb.50:                               ;   in Loop: Header=BB1_35 Depth=1
	s_mul_u64 s[16:17], s[6:7], s[8:9]
	s_delay_alu instid0(SALU_CYCLE_1) | instskip(NEXT) | instid1(SALU_CYCLE_1)
	s_mul_i32 s16, s17, s4
	s_sub_co_i32 s6, s6, s16
	s_wait_alu 0xfffe
	s_sub_co_i32 s16, s6, s4
	s_cmp_ge_u32 s6, s4
	s_cselect_b32 s6, s16, s6
	s_wait_alu 0xfffe
	s_sub_co_i32 s16, s6, s4
	s_cmp_ge_u32 s6, s4
	s_cselect_b32 s17, s16, s6
	s_add_co_i32 s16, s15, s1
	s_mul_i32 s6, s17, s17
	s_wait_alu 0xfffe
	s_add_co_i32 s6, s11, s6
	s_wait_alu 0xfffe
	s_sub_co_i32 s6, s6, s16
.LBB1_51:                               ;   Parent Loop BB1_35 Depth=1
                                        ; =>  This Inner Loop Header: Depth=2
	s_wait_alu 0xfffe
	s_add_co_i32 s6, s6, s4
	s_wait_alu 0xfffe
	s_cmp_lt_i32 s6, 0
	s_cbranch_scc1 .LBB1_51
; %bb.52:                               ;   in Loop: Header=BB1_35 Depth=1
	s_mul_u64 s[18:19], s[6:7], s[8:9]
	s_wait_alu 0xfffe
	s_mul_i32 s16, s19, s4
	s_delay_alu instid0(SALU_CYCLE_1)
	s_sub_co_i32 s6, s6, s16
	s_wait_alu 0xfffe
	s_sub_co_i32 s16, s6, s4
	s_cmp_ge_u32 s6, s4
	s_cselect_b32 s6, s16, s6
	s_wait_alu 0xfffe
	s_sub_co_i32 s16, s6, s4
	s_cmp_ge_u32 s6, s4
	s_cselect_b32 s16, s16, s6
	s_delay_alu instid0(SALU_CYCLE_1)
	s_sub_co_i32 s6, s15, s16
	s_wait_alu 0xfffe
	s_mul_i32 s6, s6, s17
	s_wait_alu 0xfffe
	s_add_co_i32 s6, s11, s6
	s_wait_alu 0xfffe
	s_sub_co_i32 s6, s6, s13
.LBB1_53:                               ;   Parent Loop BB1_35 Depth=1
                                        ; =>  This Inner Loop Header: Depth=2
	s_wait_alu 0xfffe
	s_add_co_i32 s6, s6, s4
	s_wait_alu 0xfffe
	s_cmp_lt_i32 s6, 0
	s_cbranch_scc1 .LBB1_53
; %bb.54:                               ;   in Loop: Header=BB1_35 Depth=1
	s_mul_u64 s[18:19], s[6:7], s[8:9]
	s_wait_alu 0xfffe
	s_mul_i32 s13, s19, s4
	s_delay_alu instid0(SALU_CYCLE_1)
	s_sub_co_i32 s6, s6, s13
	s_wait_alu 0xfffe
	s_sub_co_i32 s13, s6, s4
	s_cmp_ge_u32 s6, s4
	s_cselect_b32 s6, s13, s6
	s_wait_alu 0xfffe
	s_sub_co_i32 s13, s6, s4
	s_cmp_ge_u32 s6, s4
	s_cselect_b32 s13, s13, s6
	s_cmp_gt_u32 s3, 1
	s_cbranch_scc1 .LBB1_56
	s_branch .LBB1_57
.LBB1_55:                               ;   in Loop: Header=BB1_35 Depth=1
	s_mov_b32 s16, s15
	s_cmp_gt_u32 s3, 1
	s_cbranch_scc0 .LBB1_57
.LBB1_56:                               ;   in Loop: Header=BB1_35 Depth=1
	s_mov_b32 s3, s14
	s_and_not1_b32 vcc_lo, exec_lo, s10
	s_mov_b32 s18, 1
	s_wait_alu 0xfffe
	s_cbranch_vccz .LBB1_33
	s_branch .LBB1_35
.LBB1_57:
	v_dual_mov_b32 v4, s16 :: v_dual_mov_b32 v5, s13
	global_store_b32 v[0:1], v4, off
	global_store_b32 v[2:3], v5, off
.LBB1_58:
	s_endpgm
	.section	.rodata,"a",@progbits
	.p2align	6, 0x0
	.amdhsa_kernel _Z6k_fastiiiPiS_jii
		.amdhsa_group_segment_fixed_size 0
		.amdhsa_private_segment_fixed_size 0
		.amdhsa_kernarg_size 304
		.amdhsa_user_sgpr_count 2
		.amdhsa_user_sgpr_dispatch_ptr 0
		.amdhsa_user_sgpr_queue_ptr 0
		.amdhsa_user_sgpr_kernarg_segment_ptr 1
		.amdhsa_user_sgpr_dispatch_id 0
		.amdhsa_user_sgpr_private_segment_size 0
		.amdhsa_wavefront_size32 1
		.amdhsa_uses_dynamic_stack 0
		.amdhsa_enable_private_segment 0
		.amdhsa_system_sgpr_workgroup_id_x 1
		.amdhsa_system_sgpr_workgroup_id_y 0
		.amdhsa_system_sgpr_workgroup_id_z 0
		.amdhsa_system_sgpr_workgroup_info 0
		.amdhsa_system_vgpr_workitem_id 0
		.amdhsa_next_free_vgpr 6
		.amdhsa_next_free_sgpr 25
		.amdhsa_reserve_vcc 1
		.amdhsa_float_round_mode_32 0
		.amdhsa_float_round_mode_16_64 0
		.amdhsa_float_denorm_mode_32 3
		.amdhsa_float_denorm_mode_16_64 3
		.amdhsa_fp16_overflow 0
		.amdhsa_workgroup_processor_mode 1
		.amdhsa_memory_ordered 1
		.amdhsa_forward_progress 1
		.amdhsa_inst_pref_size 17
		.amdhsa_round_robin_scheduling 0
		.amdhsa_exception_fp_ieee_invalid_op 0
		.amdhsa_exception_fp_denorm_src 0
		.amdhsa_exception_fp_ieee_div_zero 0
		.amdhsa_exception_fp_ieee_overflow 0
		.amdhsa_exception_fp_ieee_underflow 0
		.amdhsa_exception_fp_ieee_inexact 0
		.amdhsa_exception_int_div_zero 0
	.end_amdhsa_kernel
	.text
.Lfunc_end1:
	.size	_Z6k_fastiiiPiS_jii, .Lfunc_end1-_Z6k_fastiiiPiS_jii
                                        ; -- End function
	.set _Z6k_fastiiiPiS_jii.num_vgpr, 6
	.set _Z6k_fastiiiPiS_jii.num_agpr, 0
	.set _Z6k_fastiiiPiS_jii.numbered_sgpr, 25
	.set _Z6k_fastiiiPiS_jii.num_named_barrier, 0
	.set _Z6k_fastiiiPiS_jii.private_seg_size, 0
	.set _Z6k_fastiiiPiS_jii.uses_vcc, 1
	.set _Z6k_fastiiiPiS_jii.uses_flat_scratch, 0
	.set _Z6k_fastiiiPiS_jii.has_dyn_sized_stack, 0
	.set _Z6k_fastiiiPiS_jii.has_recursion, 0
	.set _Z6k_fastiiiPiS_jii.has_indirect_call, 0
	.section	.AMDGPU.csdata,"",@progbits
; Kernel info:
; codeLenInByte = 2072
; TotalNumSgprs: 27
; NumVgprs: 6
; ScratchSize: 0
; MemoryBound: 0
; FloatMode: 240
; IeeeMode: 1
; LDSByteSize: 0 bytes/workgroup (compile time only)
; SGPRBlocks: 0
; VGPRBlocks: 0
; NumSGPRsForWavesPerEU: 27
; NumVGPRsForWavesPerEU: 6
; Occupancy: 16
; WaveLimiterHint : 0
; COMPUTE_PGM_RSRC2:SCRATCH_EN: 0
; COMPUTE_PGM_RSRC2:USER_SGPR: 2
; COMPUTE_PGM_RSRC2:TRAP_HANDLER: 0
; COMPUTE_PGM_RSRC2:TGID_X_EN: 1
; COMPUTE_PGM_RSRC2:TGID_Y_EN: 0
; COMPUTE_PGM_RSRC2:TGID_Z_EN: 0
; COMPUTE_PGM_RSRC2:TIDIG_COMP_CNT: 0
	.text
	.p2alignl 7, 3214868480
	.fill 96, 4, 3214868480
	.section	.AMDGPU.gpr_maximums,"",@progbits
	.set amdgpu.max_num_vgpr, 0
	.set amdgpu.max_num_agpr, 0
	.set amdgpu.max_num_sgpr, 0
	.text
	.type	__hip_cuid_aa703a7d15c6c29a,@object ; @__hip_cuid_aa703a7d15c6c29a
	.section	.bss,"aw",@nobits
	.globl	__hip_cuid_aa703a7d15c6c29a
__hip_cuid_aa703a7d15c6c29a:
	.byte	0                               ; 0x0
	.size	__hip_cuid_aa703a7d15c6c29a, 1

	.ident	"AMD clang version 22.0.0git (https://github.com/RadeonOpenCompute/llvm-project roc-7.2.4 26084 f58b06dce1f9c15707c5f808fd002e18c2accf7e)"
	.section	".note.GNU-stack","",@progbits
	.addrsig
	.addrsig_sym __hip_cuid_aa703a7d15c6c29a
	.amdgpu_metadata
---
amdhsa.kernels:
  - .args:
      - .offset:         0
        .size:           4
        .value_kind:     by_value
      - .offset:         4
        .size:           4
        .value_kind:     by_value
      - .offset:         8
        .size:           4
        .value_kind:     by_value
      - .actual_access:  write_only
        .address_space:  global
        .offset:         16
        .size:           8
        .value_kind:     global_buffer
      - .actual_access:  write_only
        .address_space:  global
        .offset:         24
        .size:           8
        .value_kind:     global_buffer
      - .offset:         32
        .size:           4
        .value_kind:     by_value
      - .offset:         36
        .size:           4
        .value_kind:     by_value
      - .offset:         40
        .size:           4
        .value_kind:     by_value
      - .offset:         48
        .size:           4
        .value_kind:     hidden_block_count_x
      - .offset:         52
        .size:           4
        .value_kind:     hidden_block_count_y
      - .offset:         56
        .size:           4
        .value_kind:     hidden_block_count_z
      - .offset:         60
        .size:           2
        .value_kind:     hidden_group_size_x
      - .offset:         62
        .size:           2
        .value_kind:     hidden_group_size_y
      - .offset:         64
        .size:           2
        .value_kind:     hidden_group_size_z
      - .offset:         66
        .size:           2
        .value_kind:     hidden_remainder_x
      - .offset:         68
        .size:           2
        .value_kind:     hidden_remainder_y
      - .offset:         70
        .size:           2
        .value_kind:     hidden_remainder_z
      - .offset:         88
        .size:           8
        .value_kind:     hidden_global_offset_x
      - .offset:         96
        .size:           8
        .value_kind:     hidden_global_offset_y
      - .offset:         104
        .size:           8
        .value_kind:     hidden_global_offset_z
      - .offset:         112
        .size:           2
        .value_kind:     hidden_grid_dims
    .group_segment_fixed_size: 0
    .kernarg_segment_align: 8
    .kernarg_segment_size: 304
    .language:       OpenCL C
    .language_version:
      - 2
      - 0
    .max_flat_workgroup_size: 1024
    .name:           _Z6k_slowiiiPiS_jii
    .private_segment_fixed_size: 0
    .sgpr_count:     23
    .sgpr_spill_count: 0
    .symbol:         _Z6k_slowiiiPiS_jii.kd
    .uniform_work_group_size: 1
    .uses_dynamic_stack: false
    .vgpr_count:     6
    .vgpr_spill_count: 0
    .wavefront_size: 32
    .workgroup_processor_mode: 1
  - .args:
      - .offset:         0
        .size:           4
        .value_kind:     by_value
      - .offset:         4
        .size:           4
        .value_kind:     by_value
      - .offset:         8
        .size:           4
        .value_kind:     by_value
      - .actual_access:  write_only
        .address_space:  global
        .offset:         16
        .size:           8
        .value_kind:     global_buffer
      - .actual_access:  write_only
        .address_space:  global
        .offset:         24
        .size:           8
        .value_kind:     global_buffer
      - .offset:         32
        .size:           4
        .value_kind:     by_value
      - .offset:         36
        .size:           4
        .value_kind:     by_value
      - .offset:         40
        .size:           4
        .value_kind:     by_value
      - .offset:         48
        .size:           4
        .value_kind:     hidden_block_count_x
      - .offset:         52
        .size:           4
        .value_kind:     hidden_block_count_y
      - .offset:         56
        .size:           4
        .value_kind:     hidden_block_count_z
      - .offset:         60
        .size:           2
        .value_kind:     hidden_group_size_x
      - .offset:         62
        .size:           2
        .value_kind:     hidden_group_size_y
      - .offset:         64
        .size:           2
        .value_kind:     hidden_group_size_z
      - .offset:         66
        .size:           2
        .value_kind:     hidden_remainder_x
      - .offset:         68
        .size:           2
        .value_kind:     hidden_remainder_y
      - .offset:         70
        .size:           2
        .value_kind:     hidden_remainder_z
      - .offset:         88
        .size:           8
        .value_kind:     hidden_global_offset_x
      - .offset:         96
        .size:           8
        .value_kind:     hidden_global_offset_y
      - .offset:         104
        .size:           8
        .value_kind:     hidden_global_offset_z
      - .offset:         112
        .size:           2
        .value_kind:     hidden_grid_dims
    .group_segment_fixed_size: 0
    .kernarg_segment_align: 8
    .kernarg_segment_size: 304
    .language:       OpenCL C
    .language_version:
      - 2
      - 0
    .max_flat_workgroup_size: 1024
    .name:           _Z6k_fastiiiPiS_jii
    .private_segment_fixed_size: 0
    .sgpr_count:     27
    .sgpr_spill_count: 0
    .symbol:         _Z6k_fastiiiPiS_jii.kd
    .uniform_work_group_size: 1
    .uses_dynamic_stack: false
    .vgpr_count:     6
    .vgpr_spill_count: 0
    .wavefront_size: 32
    .workgroup_processor_mode: 1
amdhsa.target:   amdgcn-amd-amdhsa--gfx1201
amdhsa.version:
  - 1
  - 2
...

	.end_amdgpu_metadata
